;; amdgpu-corpus repo=ROCm/rocFFT kind=compiled arch=gfx1030 opt=O3
	.text
	.amdgcn_target "amdgcn-amd-amdhsa--gfx1030"
	.amdhsa_code_object_version 6
	.protected	fft_rtc_back_len270_factors_10_3_3_3_wgs_108_tpt_27_halfLds_sp_op_CI_CI_unitstride_sbrr_R2C_dirReg ; -- Begin function fft_rtc_back_len270_factors_10_3_3_3_wgs_108_tpt_27_halfLds_sp_op_CI_CI_unitstride_sbrr_R2C_dirReg
	.globl	fft_rtc_back_len270_factors_10_3_3_3_wgs_108_tpt_27_halfLds_sp_op_CI_CI_unitstride_sbrr_R2C_dirReg
	.p2align	8
	.type	fft_rtc_back_len270_factors_10_3_3_3_wgs_108_tpt_27_halfLds_sp_op_CI_CI_unitstride_sbrr_R2C_dirReg,@function
fft_rtc_back_len270_factors_10_3_3_3_wgs_108_tpt_27_halfLds_sp_op_CI_CI_unitstride_sbrr_R2C_dirReg: ; @fft_rtc_back_len270_factors_10_3_3_3_wgs_108_tpt_27_halfLds_sp_op_CI_CI_unitstride_sbrr_R2C_dirReg
; %bb.0:
	s_clause 0x2
	s_load_dwordx4 s[12:15], s[4:5], 0x0
	s_load_dwordx4 s[8:11], s[4:5], 0x58
	;; [unrolled: 1-line block ×3, first 2 shown]
	v_mul_u32_u24_e32 v1, 0x97c, v0
	v_mov_b32_e32 v3, 0
	v_lshrrev_b32_e32 v7, 16, v1
	v_mov_b32_e32 v1, 0
	v_mov_b32_e32 v6, v3
	v_mov_b32_e32 v2, 0
	v_lshl_add_u32 v5, s6, 2, v7
	s_waitcnt lgkmcnt(0)
	v_cmp_lt_u64_e64 s0, s[14:15], 2
	s_and_b32 vcc_lo, exec_lo, s0
	s_cbranch_vccnz .LBB0_8
; %bb.1:
	s_load_dwordx2 s[0:1], s[4:5], 0x10
	v_mov_b32_e32 v1, 0
	v_mov_b32_e32 v2, 0
	s_add_u32 s2, s18, 8
	s_addc_u32 s3, s19, 0
	s_add_u32 s6, s16, 8
	s_addc_u32 s7, s17, 0
	v_mov_b32_e32 v21, v2
	v_mov_b32_e32 v20, v1
	s_mov_b64 s[22:23], 1
	s_waitcnt lgkmcnt(0)
	s_add_u32 s20, s0, 8
	s_addc_u32 s21, s1, 0
.LBB0_2:                                ; =>This Inner Loop Header: Depth=1
	s_load_dwordx2 s[24:25], s[20:21], 0x0
                                        ; implicit-def: $vgpr22_vgpr23
	s_mov_b32 s0, exec_lo
	s_waitcnt lgkmcnt(0)
	v_or_b32_e32 v4, s25, v6
	v_cmpx_ne_u64_e32 0, v[3:4]
	s_xor_b32 s1, exec_lo, s0
	s_cbranch_execz .LBB0_4
; %bb.3:                                ;   in Loop: Header=BB0_2 Depth=1
	v_cvt_f32_u32_e32 v4, s24
	v_cvt_f32_u32_e32 v8, s25
	s_sub_u32 s0, 0, s24
	s_subb_u32 s26, 0, s25
	v_fmac_f32_e32 v4, 0x4f800000, v8
	v_rcp_f32_e32 v4, v4
	v_mul_f32_e32 v4, 0x5f7ffffc, v4
	v_mul_f32_e32 v8, 0x2f800000, v4
	v_trunc_f32_e32 v8, v8
	v_fmac_f32_e32 v4, 0xcf800000, v8
	v_cvt_u32_f32_e32 v8, v8
	v_cvt_u32_f32_e32 v4, v4
	v_mul_lo_u32 v9, s0, v8
	v_mul_hi_u32 v10, s0, v4
	v_mul_lo_u32 v11, s26, v4
	v_add_nc_u32_e32 v9, v10, v9
	v_mul_lo_u32 v10, s0, v4
	v_add_nc_u32_e32 v9, v9, v11
	v_mul_hi_u32 v11, v4, v10
	v_mul_lo_u32 v12, v4, v9
	v_mul_hi_u32 v13, v4, v9
	v_mul_hi_u32 v14, v8, v10
	v_mul_lo_u32 v10, v8, v10
	v_mul_hi_u32 v15, v8, v9
	v_mul_lo_u32 v9, v8, v9
	v_add_co_u32 v11, vcc_lo, v11, v12
	v_add_co_ci_u32_e32 v12, vcc_lo, 0, v13, vcc_lo
	v_add_co_u32 v10, vcc_lo, v11, v10
	v_add_co_ci_u32_e32 v10, vcc_lo, v12, v14, vcc_lo
	v_add_co_ci_u32_e32 v11, vcc_lo, 0, v15, vcc_lo
	v_add_co_u32 v9, vcc_lo, v10, v9
	v_add_co_ci_u32_e32 v10, vcc_lo, 0, v11, vcc_lo
	v_add_co_u32 v4, vcc_lo, v4, v9
	v_add_co_ci_u32_e32 v8, vcc_lo, v8, v10, vcc_lo
	v_mul_hi_u32 v9, s0, v4
	v_mul_lo_u32 v11, s26, v4
	v_mul_lo_u32 v10, s0, v8
	v_add_nc_u32_e32 v9, v9, v10
	v_mul_lo_u32 v10, s0, v4
	v_add_nc_u32_e32 v9, v9, v11
	v_mul_hi_u32 v11, v4, v10
	v_mul_lo_u32 v12, v4, v9
	v_mul_hi_u32 v13, v4, v9
	v_mul_hi_u32 v14, v8, v10
	v_mul_lo_u32 v10, v8, v10
	v_mul_hi_u32 v15, v8, v9
	v_mul_lo_u32 v9, v8, v9
	v_add_co_u32 v11, vcc_lo, v11, v12
	v_add_co_ci_u32_e32 v12, vcc_lo, 0, v13, vcc_lo
	v_add_co_u32 v10, vcc_lo, v11, v10
	v_add_co_ci_u32_e32 v10, vcc_lo, v12, v14, vcc_lo
	v_add_co_ci_u32_e32 v11, vcc_lo, 0, v15, vcc_lo
	v_add_co_u32 v9, vcc_lo, v10, v9
	v_add_co_ci_u32_e32 v10, vcc_lo, 0, v11, vcc_lo
	v_add_co_u32 v4, vcc_lo, v4, v9
	v_add_co_ci_u32_e32 v12, vcc_lo, v8, v10, vcc_lo
	v_mul_hi_u32 v14, v5, v4
	v_mad_u64_u32 v[10:11], null, v6, v4, 0
	v_mad_u64_u32 v[8:9], null, v5, v12, 0
	v_mad_u64_u32 v[12:13], null, v6, v12, 0
	v_add_co_u32 v4, vcc_lo, v14, v8
	v_add_co_ci_u32_e32 v8, vcc_lo, 0, v9, vcc_lo
	v_add_co_u32 v4, vcc_lo, v4, v10
	v_add_co_ci_u32_e32 v4, vcc_lo, v8, v11, vcc_lo
	v_add_co_ci_u32_e32 v8, vcc_lo, 0, v13, vcc_lo
	v_add_co_u32 v4, vcc_lo, v4, v12
	v_add_co_ci_u32_e32 v10, vcc_lo, 0, v8, vcc_lo
	v_mul_lo_u32 v11, s25, v4
	v_mad_u64_u32 v[8:9], null, s24, v4, 0
	v_mul_lo_u32 v12, s24, v10
	v_sub_co_u32 v8, vcc_lo, v5, v8
	v_add3_u32 v9, v9, v12, v11
	v_sub_nc_u32_e32 v11, v6, v9
	v_subrev_co_ci_u32_e64 v11, s0, s25, v11, vcc_lo
	v_add_co_u32 v12, s0, v4, 2
	v_add_co_ci_u32_e64 v13, s0, 0, v10, s0
	v_sub_co_u32 v14, s0, v8, s24
	v_sub_co_ci_u32_e32 v9, vcc_lo, v6, v9, vcc_lo
	v_subrev_co_ci_u32_e64 v11, s0, 0, v11, s0
	v_cmp_le_u32_e32 vcc_lo, s24, v14
	v_cmp_eq_u32_e64 s0, s25, v9
	v_cndmask_b32_e64 v14, 0, -1, vcc_lo
	v_cmp_le_u32_e32 vcc_lo, s25, v11
	v_cndmask_b32_e64 v15, 0, -1, vcc_lo
	v_cmp_le_u32_e32 vcc_lo, s24, v8
	;; [unrolled: 2-line block ×3, first 2 shown]
	v_cndmask_b32_e64 v16, 0, -1, vcc_lo
	v_cmp_eq_u32_e32 vcc_lo, s25, v11
	v_cndmask_b32_e64 v8, v16, v8, s0
	v_cndmask_b32_e32 v11, v15, v14, vcc_lo
	v_add_co_u32 v14, vcc_lo, v4, 1
	v_add_co_ci_u32_e32 v15, vcc_lo, 0, v10, vcc_lo
	v_cmp_ne_u32_e32 vcc_lo, 0, v11
	v_cndmask_b32_e32 v9, v15, v13, vcc_lo
	v_cndmask_b32_e32 v11, v14, v12, vcc_lo
	v_cmp_ne_u32_e32 vcc_lo, 0, v8
	v_cndmask_b32_e32 v23, v10, v9, vcc_lo
	v_cndmask_b32_e32 v22, v4, v11, vcc_lo
.LBB0_4:                                ;   in Loop: Header=BB0_2 Depth=1
	s_andn2_saveexec_b32 s0, s1
	s_cbranch_execz .LBB0_6
; %bb.5:                                ;   in Loop: Header=BB0_2 Depth=1
	v_cvt_f32_u32_e32 v4, s24
	s_sub_i32 s1, 0, s24
	v_mov_b32_e32 v23, v3
	v_rcp_iflag_f32_e32 v4, v4
	v_mul_f32_e32 v4, 0x4f7ffffe, v4
	v_cvt_u32_f32_e32 v4, v4
	v_mul_lo_u32 v8, s1, v4
	v_mul_hi_u32 v8, v4, v8
	v_add_nc_u32_e32 v4, v4, v8
	v_mul_hi_u32 v4, v5, v4
	v_mul_lo_u32 v8, v4, s24
	v_add_nc_u32_e32 v9, 1, v4
	v_sub_nc_u32_e32 v8, v5, v8
	v_subrev_nc_u32_e32 v10, s24, v8
	v_cmp_le_u32_e32 vcc_lo, s24, v8
	v_cndmask_b32_e32 v8, v8, v10, vcc_lo
	v_cndmask_b32_e32 v4, v4, v9, vcc_lo
	v_cmp_le_u32_e32 vcc_lo, s24, v8
	v_add_nc_u32_e32 v9, 1, v4
	v_cndmask_b32_e32 v22, v4, v9, vcc_lo
.LBB0_6:                                ;   in Loop: Header=BB0_2 Depth=1
	s_or_b32 exec_lo, exec_lo, s0
	v_mul_lo_u32 v4, v23, s24
	v_mul_lo_u32 v10, v22, s25
	s_load_dwordx2 s[0:1], s[6:7], 0x0
	v_mad_u64_u32 v[8:9], null, v22, s24, 0
	s_load_dwordx2 s[24:25], s[2:3], 0x0
	s_add_u32 s22, s22, 1
	s_addc_u32 s23, s23, 0
	s_add_u32 s2, s2, 8
	s_addc_u32 s3, s3, 0
	s_add_u32 s6, s6, 8
	v_add3_u32 v4, v9, v10, v4
	v_sub_co_u32 v5, vcc_lo, v5, v8
	s_addc_u32 s7, s7, 0
	s_add_u32 s20, s20, 8
	v_sub_co_ci_u32_e32 v4, vcc_lo, v6, v4, vcc_lo
	s_addc_u32 s21, s21, 0
	s_waitcnt lgkmcnt(0)
	v_mul_lo_u32 v6, s0, v4
	v_mul_lo_u32 v8, s1, v5
	v_mad_u64_u32 v[1:2], null, s0, v5, v[1:2]
	v_mul_lo_u32 v4, s24, v4
	v_mul_lo_u32 v9, s25, v5
	v_mad_u64_u32 v[20:21], null, s24, v5, v[20:21]
	v_cmp_ge_u64_e64 s0, s[22:23], s[14:15]
	v_add3_u32 v2, v8, v2, v6
	v_add3_u32 v21, v9, v21, v4
	s_and_b32 vcc_lo, exec_lo, s0
	s_cbranch_vccnz .LBB0_9
; %bb.7:                                ;   in Loop: Header=BB0_2 Depth=1
	v_mov_b32_e32 v5, v22
	v_mov_b32_e32 v6, v23
	s_branch .LBB0_2
.LBB0_8:
	v_mov_b32_e32 v21, v2
	v_mov_b32_e32 v23, v6
	;; [unrolled: 1-line block ×4, first 2 shown]
.LBB0_9:
	s_load_dwordx2 s[0:1], s[4:5], 0x28
	v_mul_hi_u32 v3, 0x97b425f, v0
	s_lshl_b64 s[4:5], s[14:15], 3
	v_and_b32_e32 v4, 3, v7
	s_add_u32 s2, s18, s4
	s_addc_u32 s3, s19, s5
                                        ; implicit-def: $vgpr24
                                        ; implicit-def: $vgpr26
                                        ; implicit-def: $vgpr29
                                        ; implicit-def: $vgpr28
	s_waitcnt lgkmcnt(0)
	v_cmp_gt_u64_e32 vcc_lo, s[0:1], v[22:23]
	v_cmp_le_u64_e64 s0, s[0:1], v[22:23]
	s_and_saveexec_b32 s1, s0
	s_xor_b32 s0, exec_lo, s1
; %bb.10:
	v_mul_u32_u24_e32 v1, 27, v3
                                        ; implicit-def: $vgpr3
	v_sub_nc_u32_e32 v24, v0, v1
                                        ; implicit-def: $vgpr0
                                        ; implicit-def: $vgpr1_vgpr2
	v_add_nc_u32_e32 v26, 27, v24
	v_add_nc_u32_e32 v29, 54, v24
	;; [unrolled: 1-line block ×3, first 2 shown]
; %bb.11:
	s_or_saveexec_b32 s1, s0
	v_mul_u32_u24_e32 v4, 0x10f, v4
	v_lshlrev_b32_e32 v40, 3, v4
	s_xor_b32 exec_lo, exec_lo, s1
	s_cbranch_execz .LBB0_13
; %bb.12:
	s_add_u32 s4, s16, s4
	s_addc_u32 s5, s17, s5
	v_lshlrev_b64 v[1:2], 3, v[1:2]
	s_load_dwordx2 s[4:5], s[4:5], 0x0
	s_waitcnt lgkmcnt(0)
	v_mul_lo_u32 v6, s5, v22
	v_mul_lo_u32 v7, s4, v23
	v_mad_u64_u32 v[4:5], null, s4, v22, 0
	v_add3_u32 v5, v5, v7, v6
	v_mul_u32_u24_e32 v6, 27, v3
	v_lshlrev_b64 v[3:4], 3, v[4:5]
	v_sub_nc_u32_e32 v24, v0, v6
	v_lshlrev_b32_e32 v25, 3, v24
	v_add_co_u32 v0, s0, s8, v3
	v_add_co_ci_u32_e64 v3, s0, s9, v4, s0
	v_add_nc_u32_e32 v26, 27, v24
	v_add_co_u32 v0, s0, v0, v1
	v_add_co_ci_u32_e64 v1, s0, v3, v2, s0
	v_add_nc_u32_e32 v29, 54, v24
	v_add_co_u32 v0, s0, v0, v25
	v_add_co_ci_u32_e64 v1, s0, 0, v1, s0
	s_clause 0x9
	global_load_dwordx2 v[2:3], v[0:1], off
	global_load_dwordx2 v[4:5], v[0:1], off offset:216
	global_load_dwordx2 v[6:7], v[0:1], off offset:432
	;; [unrolled: 1-line block ×9, first 2 shown]
	v_add3_u32 v25, 0, v40, v25
	v_add_nc_u32_e32 v28, 0x51, v24
	s_waitcnt vmcnt(8)
	ds_write2_b64 v25, v[2:3], v[4:5] offset1:27
	s_waitcnt vmcnt(6)
	ds_write2_b64 v25, v[6:7], v[8:9] offset0:54 offset1:81
	s_waitcnt vmcnt(4)
	ds_write2_b64 v25, v[10:11], v[12:13] offset0:108 offset1:135
	;; [unrolled: 2-line block ×4, first 2 shown]
.LBB0_13:
	s_or_b32 exec_lo, exec_lo, s1
	v_lshlrev_b32_e32 v25, 3, v24
	v_add_nc_u32_e32 v36, 0, v40
	s_load_dwordx2 s[2:3], s[2:3], 0x0
	s_waitcnt lgkmcnt(0)
	s_barrier
	v_add3_u32 v27, 0, v25, v40
	v_add_nc_u32_e32 v37, v36, v25
	buffer_gl0_inv
	v_cmp_gt_u32_e64 s0, 9, v24
	ds_read2_b64 v[0:3], v27 offset0:27 offset1:54
	ds_read2_b64 v[4:7], v27 offset0:81 offset1:108
	ds_read_b64 v[16:17], v37
	ds_read2_b64 v[8:11], v27 offset0:135 offset1:162
	ds_read2_b64 v[12:15], v27 offset0:189 offset1:216
	ds_read_b64 v[18:19], v27 offset:1944
	s_waitcnt lgkmcnt(0)
	s_barrier
	buffer_gl0_inv
	v_sub_f32_e32 v34, v2, v6
	v_add_f32_e32 v30, v16, v2
	v_add_f32_e32 v31, v6, v10
	v_sub_f32_e32 v32, v3, v15
	v_sub_f32_e32 v35, v14, v10
	v_add_f32_e32 v38, v2, v14
	v_sub_f32_e32 v39, v6, v2
	v_sub_f32_e32 v41, v10, v14
	v_add_f32_e32 v43, v7, v11
	v_sub_f32_e32 v44, v6, v10
	v_add_f32_e32 v6, v30, v6
	v_fma_f32 v30, -0.5, v31, v16
	v_sub_f32_e32 v33, v7, v11
	v_add_f32_e32 v42, v17, v3
	v_sub_f32_e32 v2, v2, v14
	v_add_f32_e32 v31, v34, v35
	v_fma_f32 v16, -0.5, v38, v16
	v_add_f32_e32 v34, v39, v41
	v_fma_f32 v38, -0.5, v43, v17
	v_fmamk_f32 v39, v32, 0xbf737871, v30
	v_fmac_f32_e32 v30, 0x3f737871, v32
	v_sub_f32_e32 v45, v3, v7
	v_sub_f32_e32 v46, v15, v11
	v_add_f32_e32 v35, v42, v7
	v_add_f32_e32 v6, v6, v10
	v_fmamk_f32 v42, v2, 0x3f737871, v38
	v_fmac_f32_e32 v38, 0xbf737871, v2
	v_fmac_f32_e32 v39, 0xbf167918, v33
	;; [unrolled: 1-line block ×3, first 2 shown]
	v_add_f32_e32 v10, v3, v15
	v_fmamk_f32 v41, v33, 0x3f737871, v16
	v_fmac_f32_e32 v16, 0xbf737871, v33
	v_add_f32_e32 v6, v6, v14
	v_fmac_f32_e32 v39, 0x3e9e377a, v31
	v_fmac_f32_e32 v30, 0x3e9e377a, v31
	v_add_f32_e32 v14, v35, v11
	v_fmac_f32_e32 v42, 0x3f167918, v44
	v_add_f32_e32 v31, v45, v46
	v_fmac_f32_e32 v38, 0xbf167918, v44
	v_fmac_f32_e32 v17, -0.5, v10
	v_add_f32_e32 v10, v0, v4
	v_fmac_f32_e32 v41, 0xbf167918, v32
	v_fmac_f32_e32 v16, 0x3f167918, v32
	v_add_f32_e32 v32, v14, v15
	v_fmac_f32_e32 v42, 0x3e9e377a, v31
	v_fmac_f32_e32 v38, 0x3e9e377a, v31
	v_fmamk_f32 v31, v44, 0xbf737871, v17
	v_add_f32_e32 v14, v8, v12
	v_sub_f32_e32 v3, v7, v3
	v_sub_f32_e32 v7, v11, v15
	v_fmac_f32_e32 v17, 0x3f737871, v44
	v_add_f32_e32 v10, v10, v8
	v_fma_f32 v11, -0.5, v14, v0
	v_sub_f32_e32 v14, v5, v19
	v_fmac_f32_e32 v31, 0x3f167918, v2
	v_add_f32_e32 v3, v3, v7
	v_fmac_f32_e32 v17, 0xbf167918, v2
	v_add_f32_e32 v2, v10, v12
	v_add_f32_e32 v10, v4, v18
	v_fmamk_f32 v7, v14, 0xbf737871, v11
	v_sub_f32_e32 v15, v9, v13
	v_fmac_f32_e32 v31, 0x3e9e377a, v3
	v_fmac_f32_e32 v17, 0x3e9e377a, v3
	v_add_f32_e32 v33, v2, v18
	v_fma_f32 v3, -0.5, v10, v0
	v_sub_f32_e32 v0, v4, v8
	v_sub_f32_e32 v2, v18, v12
	v_fmac_f32_e32 v11, 0x3f737871, v14
	v_sub_f32_e32 v10, v8, v4
	v_sub_f32_e32 v35, v12, v18
	v_fmac_f32_e32 v41, 0x3e9e377a, v34
	v_fmac_f32_e32 v16, 0x3e9e377a, v34
	;; [unrolled: 1-line block ×3, first 2 shown]
	v_fmamk_f32 v34, v15, 0x3f737871, v3
	v_add_f32_e32 v0, v0, v2
	v_fmac_f32_e32 v11, 0x3f167918, v15
	v_fmac_f32_e32 v3, 0xbf737871, v15
	v_add_f32_e32 v2, v10, v35
	v_add_f32_e32 v10, v9, v13
	v_fmac_f32_e32 v34, 0xbf167918, v14
	v_fmac_f32_e32 v7, 0x3e9e377a, v0
	;; [unrolled: 1-line block ×4, first 2 shown]
	v_add_f32_e32 v0, v5, v19
	v_fma_f32 v10, -0.5, v10, v1
	v_sub_f32_e32 v4, v4, v18
	v_fmac_f32_e32 v34, 0x3e9e377a, v2
	v_fmac_f32_e32 v3, 0x3e9e377a, v2
	v_sub_f32_e32 v2, v8, v12
	v_fma_f32 v12, -0.5, v0, v1
	v_add_f32_e32 v0, v1, v5
	v_fmamk_f32 v1, v4, 0x3f737871, v10
	v_sub_f32_e32 v8, v5, v9
	v_sub_f32_e32 v14, v19, v13
	v_fmac_f32_e32 v10, 0xbf737871, v4
	v_fmamk_f32 v15, v2, 0xbf737871, v12
	v_fmac_f32_e32 v1, 0x3f167918, v2
	v_sub_f32_e32 v5, v9, v5
	v_add_f32_e32 v8, v8, v14
	v_sub_f32_e32 v18, v13, v19
	v_fmac_f32_e32 v12, 0x3f737871, v2
	v_add_f32_e32 v0, v0, v9
	v_fmac_f32_e32 v10, 0xbf167918, v2
	v_fmac_f32_e32 v1, 0x3e9e377a, v8
	;; [unrolled: 1-line block ×3, first 2 shown]
	v_add_f32_e32 v5, v5, v18
	v_fmac_f32_e32 v12, 0xbf167918, v4
	v_add_f32_e32 v0, v0, v13
	v_mul_f32_e32 v13, 0xbf167918, v1
	v_fmac_f32_e32 v10, 0x3e9e377a, v8
	v_fmac_f32_e32 v15, 0x3e9e377a, v5
	;; [unrolled: 1-line block ×3, first 2 shown]
	v_add_f32_e32 v19, v0, v19
	v_fmac_f32_e32 v13, 0x3f4f1bbd, v7
	v_mul_f32_e32 v43, 0xbf167918, v10
	v_mul_f32_e32 v7, 0x3f167918, v7
	;; [unrolled: 1-line block ×7, first 2 shown]
	v_fmac_f32_e32 v43, 0xbf4f1bbd, v11
	v_fmac_f32_e32 v7, 0x3f4f1bbd, v1
	v_fmac_f32_e32 v18, 0x3e9e377a, v34
	v_fmac_f32_e32 v35, 0xbe9e377a, v3
	v_fmac_f32_e32 v44, 0x3f737871, v34
	v_fmac_f32_e32 v45, 0x3f737871, v3
	v_fmac_f32_e32 v46, 0x3f167918, v11
	v_add_f32_e32 v0, v6, v33
	v_add_f32_e32 v2, v39, v13
	;; [unrolled: 1-line block ×5, first 2 shown]
	v_sub_f32_e32 v12, v6, v33
	v_sub_f32_e32 v6, v30, v43
	v_mad_u32_u24 v30, 0x48, v24, v27
	v_add_f32_e32 v4, v41, v18
	v_add_f32_e32 v8, v16, v35
	;; [unrolled: 1-line block ×5, first 2 shown]
	v_sub_f32_e32 v14, v39, v13
	v_sub_f32_e32 v13, v32, v19
	;; [unrolled: 1-line block ×5, first 2 shown]
	v_lshl_add_u32 v39, v26, 3, v36
	v_sub_f32_e32 v16, v16, v35
	v_sub_f32_e32 v17, v17, v45
	;; [unrolled: 1-line block ×3, first 2 shown]
	v_lshl_add_u32 v38, v29, 3, v36
	ds_write2_b64 v30, v[0:1], v[2:3] offset1:1
	ds_write2_b64 v30, v[4:5], v[8:9] offset0:2 offset1:3
	ds_write2_b64 v30, v[10:11], v[12:13] offset0:4 offset1:5
	;; [unrolled: 1-line block ×4, first 2 shown]
	s_waitcnt lgkmcnt(0)
	s_barrier
	buffer_gl0_inv
	ds_read2_b64 v[16:19], v27 offset0:90 offset1:117
	ds_read2_b64 v[8:11], v27 offset0:144 offset1:180
	;; [unrolled: 1-line block ×3, first 2 shown]
	ds_read_b64 v[34:35], v37
	ds_read_b64 v[32:33], v39
	;; [unrolled: 1-line block ×3, first 2 shown]
	v_lshlrev_b32_e32 v41, 3, v28
                                        ; implicit-def: $vgpr15
	s_and_saveexec_b32 s1, s0
	s_cbranch_execz .LBB0_15
; %bb.14:
	v_add3_u32 v4, 0, v41, v40
	v_add_nc_u32_e32 v5, 0x400, v27
	ds_read_b64 v[6:7], v4
	ds_read2_b64 v[12:15], v5 offset0:43 offset1:133
.LBB0_15:
	s_or_b32 exec_lo, exec_lo, s1
	v_and_b32_e32 v4, 0xff, v24
	v_and_b32_e32 v5, 0xff, v26
	v_mov_b32_e32 v53, 4
	v_mul_lo_u16 v4, 0xcd, v4
	v_mul_lo_u16 v5, 0xcd, v5
	v_lshrrev_b16 v4, 11, v4
	v_lshrrev_b16 v5, 11, v5
	v_mul_lo_u16 v42, v4, 10
	v_mul_lo_u16 v43, v5, 10
	v_and_b32_e32 v4, 0xffff, v4
	v_and_b32_e32 v5, 0xffff, v5
	v_sub_nc_u16 v54, v24, v42
	v_sub_nc_u16 v55, v26, v43
	v_mad_u32_u24 v4, 0xf0, v4, 0
	v_mad_u32_u24 v5, 0xf0, v5, 0
	v_lshlrev_b32_sdwa v42, v53, v54 dst_sel:DWORD dst_unused:UNUSED_PAD src0_sel:DWORD src1_sel:BYTE_0
	v_lshlrev_b32_sdwa v43, v53, v55 dst_sel:DWORD dst_unused:UNUSED_PAD src0_sel:DWORD src1_sel:BYTE_0
	s_clause 0x1
	global_load_dwordx4 v[45:48], v42, s[12:13]
	global_load_dwordx4 v[49:52], v43, s[12:13]
	v_and_b32_e32 v42, 0xff, v29
	v_and_b32_e32 v43, 0xff, v28
	v_mul_lo_u16 v44, 0xcd, v42
	v_mul_lo_u16 v56, 0xcd, v43
	v_lshrrev_b16 v57, 11, v44
	v_lshrrev_b16 v44, 11, v56
	v_mul_lo_u16 v56, v57, 10
	v_mul_lo_u16 v44, v44, 10
	v_sub_nc_u16 v56, v29, v56
	v_sub_nc_u16 v44, v28, v44
	v_lshlrev_b32_sdwa v58, v53, v56 dst_sel:DWORD dst_unused:UNUSED_PAD src0_sel:DWORD src1_sel:BYTE_0
	s_waitcnt vmcnt(1) lgkmcnt(5)
	v_mul_f32_e32 v59, v46, v17
	v_mul_f32_e32 v46, v46, v16
	s_waitcnt lgkmcnt(4)
	v_mul_f32_e32 v60, v48, v11
	v_mul_f32_e32 v48, v48, v10
	s_waitcnt vmcnt(0)
	v_mul_f32_e32 v61, v50, v19
	v_mul_f32_e32 v50, v50, v18
	v_fmac_f32_e32 v59, v45, v16
	v_fma_f32 v62, v45, v17, -v46
	v_fmac_f32_e32 v60, v47, v10
	v_fma_f32 v11, v47, v11, -v48
	global_load_dwordx4 v[45:48], v58, s[12:13]
	v_lshlrev_b32_sdwa v10, v53, v44 dst_sel:DWORD dst_unused:UNUSED_PAD src0_sel:DWORD src1_sel:BYTE_0
	v_fmac_f32_e32 v61, v49, v18
	v_fma_f32 v49, v49, v19, -v50
	v_and_b32_e32 v50, 0xffff, v57
	global_load_dwordx4 v[16:19], v10, s[12:13]
	v_mov_b32_e32 v10, 3
	s_waitcnt vmcnt(0) lgkmcnt(0)
	v_mad_u32_u24 v50, 0xf0, v50, 0
	s_barrier
	buffer_gl0_inv
	v_lshlrev_b32_sdwa v53, v10, v54 dst_sel:DWORD dst_unused:UNUSED_PAD src0_sel:DWORD src1_sel:BYTE_0
	v_lshlrev_b32_sdwa v54, v10, v55 dst_sel:DWORD dst_unused:UNUSED_PAD src0_sel:DWORD src1_sel:BYTE_0
	;; [unrolled: 1-line block ×3, first 2 shown]
	v_add3_u32 v53, v4, v53, v40
	v_add3_u32 v54, v5, v54, v40
	v_mul_f32_e32 v4, v52, v1
	v_mul_f32_e32 v5, v52, v0
	v_add3_u32 v50, v50, v55, v40
	v_fmac_f32_e32 v4, v51, v0
	v_fma_f32 v5, v51, v1, -v5
	v_mul_f32_e32 v52, v46, v9
	v_mul_f32_e32 v46, v46, v8
	v_mul_f32_e32 v51, v48, v3
	v_mul_f32_e32 v0, v48, v2
	v_sub_f32_e32 v48, v61, v4
	v_fmac_f32_e32 v52, v45, v8
	v_mul_f32_e32 v1, v13, v17
	v_mul_f32_e32 v17, v12, v17
	v_fma_f32 v8, v45, v9, -v46
	v_mul_f32_e32 v45, v15, v19
	v_mul_f32_e32 v9, v14, v19
	v_fmac_f32_e32 v51, v47, v2
	v_fma_f32 v2, v47, v3, -v0
	v_fmac_f32_e32 v1, v12, v16
	v_fma_f32 v0, v13, v16, -v17
	;; [unrolled: 2-line block ×3, first 2 shown]
	v_add_f32_e32 v12, v59, v60
	v_add_f32_e32 v15, v62, v11
	;; [unrolled: 1-line block ×10, first 2 shown]
	v_sub_f32_e32 v14, v62, v11
	v_add_f32_e32 v13, v35, v62
	v_sub_f32_e32 v16, v59, v60
	v_add_f32_e32 v46, v33, v49
	v_add_f32_e32 v57, v31, v8
	;; [unrolled: 1-line block ×3, first 2 shown]
	v_sub_f32_e32 v62, v0, v3
	v_add_f32_e32 v63, v7, v0
	v_sub_f32_e32 v65, v1, v45
	v_fma_f32 v34, -0.5, v12, v34
	v_fmac_f32_e32 v35, -0.5, v15
	v_fmac_f32_e32 v6, -0.5, v61
	;; [unrolled: 1-line block ×3, first 2 shown]
	v_sub_f32_e32 v19, v49, v5
	v_fma_f32 v32, -0.5, v18, v32
	v_fmac_f32_e32 v33, -0.5, v47
	v_add_f32_e32 v49, v30, v52
	v_sub_f32_e32 v56, v8, v2
	v_sub_f32_e32 v52, v52, v51
	v_fma_f32 v30, -0.5, v55, v30
	v_fmac_f32_e32 v31, -0.5, v58
	v_add_f32_e32 v0, v9, v60
	v_add_f32_e32 v1, v13, v11
	;; [unrolled: 1-line block ×7, first 2 shown]
	v_fmamk_f32 v13, v14, 0xbf5db3d7, v34
	v_fmac_f32_e32 v34, 0x3f5db3d7, v14
	v_fmamk_f32 v14, v16, 0x3f5db3d7, v35
	v_fmamk_f32 v4, v62, 0xbf5db3d7, v6
	v_fmac_f32_e32 v6, 0x3f5db3d7, v62
	v_fmamk_f32 v5, v65, 0x3f5db3d7, v7
	v_fmac_f32_e32 v7, 0xbf5db3d7, v65
	v_fmac_f32_e32 v35, 0xbf5db3d7, v16
	v_fmamk_f32 v15, v19, 0xbf5db3d7, v32
	v_fmamk_f32 v16, v48, 0x3f5db3d7, v33
	v_fmac_f32_e32 v32, 0x3f5db3d7, v19
	v_fmac_f32_e32 v33, 0xbf5db3d7, v48
	v_add_f32_e32 v11, v49, v51
	v_fmamk_f32 v17, v56, 0xbf5db3d7, v30
	v_fmamk_f32 v18, v52, 0x3f5db3d7, v31
	v_fmac_f32_e32 v30, 0x3f5db3d7, v56
	v_fmac_f32_e32 v31, 0xbf5db3d7, v52
	ds_write2_b64 v53, v[0:1], v[13:14] offset1:10
	ds_write_b64 v53, v[34:35] offset:160
	ds_write2_b64 v54, v[8:9], v[15:16] offset1:10
	ds_write_b64 v54, v[32:33] offset:160
	ds_write2_b64 v50, v[11:12], v[17:18] offset1:10
	ds_write_b64 v50, v[30:31] offset:160
	s_and_saveexec_b32 s1, s0
	s_cbranch_execz .LBB0_17
; %bb.16:
	v_lshlrev_b32_sdwa v0, v10, v44 dst_sel:DWORD dst_unused:UNUSED_PAD src0_sel:DWORD src1_sel:BYTE_0
	v_add3_u32 v0, 0, v0, v40
	ds_write2_b64 v0, v[2:3], v[4:5] offset0:240 offset1:250
	ds_write_b64 v0, v[6:7] offset:2080
.LBB0_17:
	s_or_b32 exec_lo, exec_lo, s1
	s_waitcnt lgkmcnt(0)
	s_barrier
	buffer_gl0_inv
	ds_read2_b64 v[8:11], v27 offset0:90 offset1:117
	ds_read2_b64 v[16:19], v27 offset0:144 offset1:180
	;; [unrolled: 1-line block ×3, first 2 shown]
	ds_read_b64 v[0:1], v37
	ds_read_b64 v[32:33], v39
	;; [unrolled: 1-line block ×3, first 2 shown]
	s_and_saveexec_b32 s1, s0
	s_cbranch_execz .LBB0_19
; %bb.18:
	v_add3_u32 v2, 0, v41, v40
	v_add_nc_u32_e32 v4, 0x400, v27
	ds_read_b64 v[2:3], v2
	ds_read2_b64 v[4:7], v4 offset0:43 offset1:133
.LBB0_19:
	s_or_b32 exec_lo, exec_lo, s1
	v_mul_lo_u16 v34, 0x89, v43
	v_mov_b32_e32 v54, 4
	v_mul_lo_u16 v35, 0x89, v42
	v_lshlrev_b32_e32 v48, 1, v24
	v_mov_b32_e32 v49, 0
	v_lshrrev_b16 v34, 12, v34
	v_cmp_gt_u32_e64 s1, 3, v24
	v_lshrrev_b16 v58, 12, v35
	v_mul_lo_u16 v34, v34, 30
	v_mul_lo_u16 v50, v58, 30
	v_sub_nc_u16 v43, v28, v34
	v_sub_nc_u16 v59, v29, v50
	v_lshlrev_b32_sdwa v34, v54, v43 dst_sel:DWORD dst_unused:UNUSED_PAD src0_sel:DWORD src1_sel:BYTE_0
	v_lshlrev_b32_sdwa v54, v54, v59 dst_sel:DWORD dst_unused:UNUSED_PAD src0_sel:DWORD src1_sel:BYTE_0
	global_load_dwordx4 v[44:47], v34, s[12:13] offset:160
	v_add_nc_u32_e32 v34, -3, v24
	v_cndmask_b32_e64 v42, v34, v26, s1
	v_lshlrev_b64 v[34:35], 3, v[48:49]
	v_lshlrev_b32_e32 v48, 1, v42
	v_add_co_u32 v34, s1, s12, v34
	v_add_co_ci_u32_e64 v35, s1, s13, v35, s1
	v_lshlrev_b64 v[52:53], 3, v[48:49]
	global_load_dwordx4 v[48:51], v[34:35], off offset:160
	v_add_co_u32 v56, s1, s12, v52
	v_add_co_ci_u32_e64 v57, s1, s13, v53, s1
	global_load_dwordx4 v[52:55], v54, s[12:13] offset:160
	v_cmp_lt_u32_e64 s1, 2, v24
	s_waitcnt vmcnt(2) lgkmcnt(0)
	v_mul_f32_e32 v60, v5, v45
	v_mul_f32_e32 v45, v4, v45
	;; [unrolled: 1-line block ×4, first 2 shown]
	v_fmac_f32_e32 v60, v4, v44
	v_fma_f32 v62, v5, v44, -v45
	v_fmac_f32_e32 v61, v6, v46
	v_fma_f32 v63, v7, v46, -v47
	global_load_dwordx4 v[44:47], v[56:57], off offset:160
	v_cndmask_b32_e64 v5, 0, 0x2d0, s1
	v_and_b32_e32 v6, 0xffff, v58
	v_mov_b32_e32 v4, 3
	v_lshlrev_b32_e32 v7, 3, v42
	s_waitcnt vmcnt(0)
	v_add_nc_u32_e32 v5, 0, v5
	v_mad_u32_u24 v6, 0x2d0, v6, 0
	v_lshlrev_b32_sdwa v42, v4, v59 dst_sel:DWORD dst_unused:UNUSED_PAD src0_sel:DWORD src1_sel:BYTE_0
	s_barrier
	buffer_gl0_inv
	v_add3_u32 v56, v5, v7, v40
	v_mul_f32_e32 v5, v49, v9
	v_add3_u32 v42, v6, v42, v40
	v_mul_f32_e32 v6, v49, v8
	v_mul_f32_e32 v7, v51, v19
	;; [unrolled: 1-line block ×3, first 2 shown]
	v_fmac_f32_e32 v5, v48, v8
	v_fma_f32 v6, v48, v9, -v6
	v_fmac_f32_e32 v7, v50, v18
	v_fma_f32 v8, v50, v19, -v49
	v_mul_f32_e32 v9, v53, v17
	v_mul_f32_e32 v18, v53, v16
	;; [unrolled: 1-line block ×4, first 2 shown]
	v_add_f32_e32 v51, v6, v8
	v_fmac_f32_e32 v9, v52, v16
	v_fma_f32 v16, v52, v17, -v18
	v_add_f32_e32 v50, v5, v7
	v_fmac_f32_e32 v19, v54, v14
	v_fma_f32 v14, v54, v15, -v48
	v_add_f32_e32 v48, v1, v6
	v_sub_f32_e32 v52, v5, v7
	v_fmac_f32_e32 v1, -0.5, v51
	v_sub_f32_e32 v15, v6, v8
	v_add_f32_e32 v51, v62, v63
	v_add_f32_e32 v6, v48, v8
	v_sub_f32_e32 v48, v62, v63
	v_fmamk_f32 v8, v52, 0x3f5db3d7, v1
	v_fmac_f32_e32 v1, 0xbf5db3d7, v52
	v_sub_f32_e32 v53, v60, v61
	v_mul_f32_e32 v49, v45, v11
	v_mul_f32_e32 v45, v45, v10
	;; [unrolled: 1-line block ×4, first 2 shown]
	v_add_f32_e32 v47, v0, v5
	v_fmac_f32_e32 v49, v44, v10
	v_fma_f32 v10, v44, v11, -v45
	v_fmac_f32_e32 v18, v46, v12
	v_fma_f32 v12, v46, v13, -v17
	v_add_f32_e32 v5, v47, v7
	v_fma_f32 v0, -0.5, v50, v0
	v_add_f32_e32 v47, v60, v61
	v_add_f32_e32 v52, v49, v18
	;; [unrolled: 1-line block ×4, first 2 shown]
	v_sub_f32_e32 v44, v16, v14
	v_add_f32_e32 v17, v31, v16
	v_add_f32_e32 v16, v16, v14
	;; [unrolled: 1-line block ×5, first 2 shown]
	v_fmamk_f32 v7, v15, 0xbf5db3d7, v0
	v_fmac_f32_e32 v0, 0x3f5db3d7, v15
	v_add_f32_e32 v15, v32, v49
	v_sub_f32_e32 v54, v10, v12
	v_add_f32_e32 v55, v33, v10
	v_sub_f32_e32 v49, v49, v18
	v_fmac_f32_e32 v2, -0.5, v47
	v_fmac_f32_e32 v3, -0.5, v51
	v_fma_f32 v32, -0.5, v52, v32
	v_fmac_f32_e32 v33, -0.5, v57
	v_sub_f32_e32 v45, v9, v19
	v_fma_f32 v30, -0.5, v13, v30
	v_fmac_f32_e32 v31, -0.5, v16
	v_add_f32_e32 v9, v11, v19
	v_add_f32_e32 v10, v17, v14
	;; [unrolled: 1-line block ×6, first 2 shown]
	ds_write2_b64 v27, v[5:6], v[7:8] offset1:30
	ds_write_b64 v27, v[0:1] offset:480
	v_fmamk_f32 v0, v48, 0xbf5db3d7, v2
	v_fmamk_f32 v7, v54, 0xbf5db3d7, v32
	;; [unrolled: 1-line block ×3, first 2 shown]
	v_fmac_f32_e32 v2, 0x3f5db3d7, v48
	v_fmamk_f32 v1, v53, 0x3f5db3d7, v3
	v_fmac_f32_e32 v3, 0xbf5db3d7, v53
	v_fmac_f32_e32 v32, 0x3f5db3d7, v54
	;; [unrolled: 1-line block ×3, first 2 shown]
	v_fmamk_f32 v5, v44, 0xbf5db3d7, v30
	v_fmamk_f32 v6, v45, 0x3f5db3d7, v31
	v_fmac_f32_e32 v30, 0x3f5db3d7, v44
	v_fmac_f32_e32 v31, 0xbf5db3d7, v45
	ds_write2_b64 v56, v[11:12], v[7:8] offset1:30
	ds_write_b64 v56, v[32:33] offset:480
	ds_write2_b64 v42, v[9:10], v[5:6] offset1:30
	ds_write_b64 v42, v[30:31] offset:480
	s_and_saveexec_b32 s1, s0
	s_cbranch_execz .LBB0_21
; %bb.20:
	v_lshlrev_b32_sdwa v4, v4, v43 dst_sel:DWORD dst_unused:UNUSED_PAD src0_sel:DWORD src1_sel:BYTE_0
	v_add3_u32 v4, 0, v4, v40
	ds_write2_b64 v4, v[16:17], v[0:1] offset0:180 offset1:210
	ds_write_b64 v4, v[2:3] offset:1920
.LBB0_21:
	s_or_b32 exec_lo, exec_lo, s1
	s_waitcnt lgkmcnt(0)
	s_barrier
	buffer_gl0_inv
	ds_read2_b64 v[12:15], v27 offset0:90 offset1:117
	ds_read2_b64 v[4:7], v27 offset0:144 offset1:180
	;; [unrolled: 1-line block ×3, first 2 shown]
	ds_read_b64 v[32:33], v37
	ds_read_b64 v[30:31], v39
	;; [unrolled: 1-line block ×3, first 2 shown]
	s_and_saveexec_b32 s1, s0
	s_cbranch_execz .LBB0_23
; %bb.22:
	v_add3_u32 v0, 0, v41, v40
	v_add_nc_u32_e32 v1, 0x400, v27
	ds_read_b64 v[16:17], v0
	ds_read2_b64 v[0:3], v1 offset0:43 offset1:133
.LBB0_23:
	s_or_b32 exec_lo, exec_lo, s1
	global_load_dwordx4 v[40:43], v[34:35], off offset:640
	v_lshlrev_b32_e32 v34, 1, v26
	v_mov_b32_e32 v35, 0
	v_lshlrev_b64 v[44:45], 3, v[34:35]
	v_lshlrev_b32_e32 v34, 1, v29
	v_lshlrev_b64 v[48:49], 3, v[34:35]
	v_add_co_u32 v44, s1, s12, v44
	v_add_co_ci_u32_e64 v45, s1, s13, v45, s1
	v_add_co_u32 v48, s1, s12, v48
	global_load_dwordx4 v[44:47], v[44:45], off offset:640
	v_add_co_ci_u32_e64 v49, s1, s13, v49, s1
	global_load_dwordx4 v[48:51], v[48:49], off offset:640
	s_waitcnt vmcnt(0) lgkmcnt(0)
	s_barrier
	buffer_gl0_inv
	v_mul_f32_e32 v34, v41, v13
	v_mul_f32_e32 v41, v41, v12
	;; [unrolled: 1-line block ×4, first 2 shown]
	v_fmac_f32_e32 v34, v40, v12
	v_fma_f32 v12, v40, v13, -v41
	v_fmac_f32_e32 v52, v42, v6
	v_fma_f32 v7, v42, v7, -v43
	v_add_f32_e32 v6, v32, v34
	v_add_f32_e32 v41, v33, v12
	v_add_f32_e32 v13, v34, v52
	v_sub_f32_e32 v40, v12, v7
	v_add_f32_e32 v12, v12, v7
	v_sub_f32_e32 v34, v34, v52
	v_add_f32_e32 v7, v41, v7
	v_fma_f32 v32, -0.5, v13, v32
	v_add_f32_e32 v6, v6, v52
	v_fmac_f32_e32 v33, -0.5, v12
	v_mul_f32_e32 v41, v45, v15
	v_mul_f32_e32 v42, v45, v14
	;; [unrolled: 1-line block ×4, first 2 shown]
	v_fmamk_f32 v12, v40, 0xbf5db3d7, v32
	v_fmac_f32_e32 v32, 0x3f5db3d7, v40
	v_fmamk_f32 v13, v34, 0x3f5db3d7, v33
	v_fmac_f32_e32 v33, 0xbf5db3d7, v34
	v_fmac_f32_e32 v41, v44, v14
	v_fma_f32 v14, v44, v15, -v42
	v_fmac_f32_e32 v43, v46, v8
	v_fma_f32 v8, v46, v9, -v45
	v_mul_f32_e32 v9, v49, v5
	v_mul_f32_e32 v15, v49, v4
	;; [unrolled: 1-line block ×4, first 2 shown]
	ds_write2_b64 v27, v[6:7], v[12:13] offset1:90
	v_fmac_f32_e32 v9, v48, v4
	v_fma_f32 v6, v48, v5, -v15
	v_fmac_f32_e32 v34, v50, v10
	v_fma_f32 v10, v50, v11, -v40
	v_add_f32_e32 v5, v41, v43
	v_add_f32_e32 v11, v31, v14
	;; [unrolled: 1-line block ×5, first 2 shown]
	v_fma_f32 v30, -0.5, v5, v30
	v_add_f32_e32 v5, v11, v8
	v_add_f32_e32 v11, v9, v34
	v_sub_f32_e32 v7, v14, v8
	v_sub_f32_e32 v13, v41, v43
	v_fmac_f32_e32 v31, -0.5, v12
	v_add_f32_e32 v8, v18, v9
	v_sub_f32_e32 v12, v6, v10
	v_add_f32_e32 v14, v19, v6
	v_sub_f32_e32 v40, v9, v34
	v_fma_f32 v18, -0.5, v11, v18
	v_fmac_f32_e32 v19, -0.5, v15
	v_add_f32_e32 v4, v4, v43
	v_fmamk_f32 v6, v7, 0xbf5db3d7, v30
	v_fmac_f32_e32 v30, 0x3f5db3d7, v7
	v_fmamk_f32 v7, v13, 0x3f5db3d7, v31
	v_fmac_f32_e32 v31, 0xbf5db3d7, v13
	v_add_f32_e32 v8, v8, v34
	v_add_f32_e32 v9, v14, v10
	v_fmamk_f32 v10, v12, 0xbf5db3d7, v18
	v_fmamk_f32 v11, v40, 0x3f5db3d7, v19
	v_fmac_f32_e32 v18, 0x3f5db3d7, v12
	v_fmac_f32_e32 v19, 0xbf5db3d7, v40
	ds_write_b64 v27, v[32:33] offset:1440
	ds_write2_b64 v39, v[4:5], v[6:7] offset1:90
	ds_write_b64 v39, v[30:31] offset:1440
	ds_write2_b64 v38, v[8:9], v[10:11] offset1:90
	ds_write_b64 v38, v[18:19] offset:1440
	s_and_saveexec_b32 s1, s0
	s_cbranch_execz .LBB0_25
; %bb.24:
	v_add_nc_u32_e32 v4, -9, v24
	v_cndmask_b32_e64 v4, v4, v28, s0
	v_lshlrev_b32_e32 v34, 1, v4
	v_lshlrev_b64 v[4:5], 3, v[34:35]
	v_add_co_u32 v4, s0, s12, v4
	v_add_co_ci_u32_e64 v5, s0, s13, v5, s0
	global_load_dwordx4 v[4:7], v[4:5], off offset:640
	s_waitcnt vmcnt(0)
	v_mul_f32_e32 v8, v0, v5
	v_mul_f32_e32 v9, v2, v7
	;; [unrolled: 1-line block ×4, first 2 shown]
	v_fma_f32 v8, v1, v4, -v8
	v_fma_f32 v3, v3, v6, -v9
	v_fmac_f32_e32 v5, v0, v4
	v_fmac_f32_e32 v7, v2, v6
	v_add_f32_e32 v6, v17, v8
	v_add_f32_e32 v0, v8, v3
	v_sub_f32_e32 v8, v8, v3
	v_add_f32_e32 v2, v5, v7
	v_sub_f32_e32 v4, v5, v7
	v_add_f32_e32 v5, v16, v5
	v_fma_f32 v1, -0.5, v0, v17
	v_add_f32_e32 v3, v6, v3
	v_fma_f32 v0, -0.5, v2, v16
	v_add_f32_e32 v2, v5, v7
	v_fmamk_f32 v5, v4, 0xbf5db3d7, v1
	v_fmac_f32_e32 v1, 0x3f5db3d7, v4
	v_fmamk_f32 v4, v8, 0x3f5db3d7, v0
	v_fmac_f32_e32 v0, 0xbf5db3d7, v8
	ds_write2_b64 v27, v[2:3], v[0:1] offset0:81 offset1:171
	ds_write_b64 v27, v[4:5] offset:2088
.LBB0_25:
	s_or_b32 exec_lo, exec_lo, s1
	s_waitcnt lgkmcnt(0)
	s_barrier
	buffer_gl0_inv
	ds_read_b64 v[2:3], v37
	v_sub_nc_u32_e32 v4, v36, v25
	s_add_u32 s1, s12, 0x820
	s_addc_u32 s4, s13, 0
	s_mov_b32 s5, exec_lo
                                        ; implicit-def: $vgpr6
                                        ; implicit-def: $vgpr5
                                        ; implicit-def: $vgpr0_vgpr1
	v_cmpx_ne_u32_e32 0, v24
	s_xor_b32 s5, exec_lo, s5
	s_cbranch_execz .LBB0_27
; %bb.26:
	v_mov_b32_e32 v25, 0
	ds_read_b64 v[5:6], v4 offset:2160
	v_lshlrev_b64 v[0:1], 3, v[24:25]
	v_add_co_u32 v0, s0, s1, v0
	v_add_co_ci_u32_e64 v1, s0, s4, v1, s0
	global_load_dwordx2 v[0:1], v[0:1], off
	s_waitcnt lgkmcnt(0)
	v_sub_f32_e32 v7, v2, v5
	v_add_f32_e32 v8, v6, v3
	v_sub_f32_e32 v3, v3, v6
	v_add_f32_e32 v2, v5, v2
	v_mul_f32_e32 v6, 0.5, v7
	v_mul_f32_e32 v7, 0.5, v8
	;; [unrolled: 1-line block ×3, first 2 shown]
	s_waitcnt vmcnt(0)
	v_mul_f32_e32 v8, v1, v6
	v_fma_f32 v9, v7, v1, v3
	v_fma_f32 v1, v7, v1, -v3
	v_fma_f32 v5, 0.5, v2, v8
	v_fma_f32 v2, v2, 0.5, -v8
	v_fma_f32 v3, -v0, v6, v9
	v_fma_f32 v8, -v0, v6, v1
	ds_write_b32 v37, v3 offset:4
	ds_write_b32 v4, v8 offset:2164
	v_fmac_f32_e32 v5, v0, v7
	v_fma_f32 v6, -v0, v7, v2
	v_mov_b32_e32 v0, v24
	v_mov_b32_e32 v1, v25
                                        ; implicit-def: $vgpr2_vgpr3
.LBB0_27:
	s_andn2_saveexec_b32 s0, s5
	s_cbranch_execz .LBB0_29
; %bb.28:
	v_mov_b32_e32 v0, 0
	s_waitcnt lgkmcnt(0)
	v_add_f32_e32 v5, v2, v3
	v_sub_f32_e32 v6, v2, v3
	ds_write_b32 v37, v0 offset:4
	ds_write_b32 v4, v0 offset:2164
	ds_read_b32 v0, v36 offset:1084
	s_waitcnt lgkmcnt(0)
	v_xor_b32_e32 v7, 0x80000000, v0
	v_mov_b32_e32 v0, 0
	v_mov_b32_e32 v1, 0
	ds_write_b32 v36, v7 offset:1084
.LBB0_29:
	s_or_b32 exec_lo, exec_lo, s0
	v_mov_b32_e32 v27, 0
	v_lshlrev_b64 v[0:1], 3, v[0:1]
	s_waitcnt lgkmcnt(0)
	v_lshlrev_b64 v[2:3], 3, v[26:27]
	v_mov_b32_e32 v30, v27
	v_lshlrev_b64 v[7:8], 3, v[29:30]
	v_add_co_u32 v2, s0, s1, v2
	v_add_co_ci_u32_e64 v3, s0, s4, v3, s0
	v_mov_b32_e32 v29, v27
	v_add_co_u32 v7, s0, s1, v7
	global_load_dwordx2 v[2:3], v[2:3], off
	v_add_co_ci_u32_e64 v8, s0, s4, v8, s0
	v_lshlrev_b64 v[9:10], 3, v[28:29]
	global_load_dwordx2 v[7:8], v[7:8], off
	v_add_co_u32 v9, s0, s1, v9
	v_add_co_ci_u32_e64 v10, s0, s4, v10, s0
	v_add_co_u32 v0, s0, s1, v0
	v_add_co_ci_u32_e64 v1, s0, s4, v1, s0
	s_clause 0x1
	global_load_dwordx2 v[9:10], v[9:10], off
	global_load_dwordx2 v[0:1], v[0:1], off offset:864
	ds_write_b32 v37, v5
	ds_write_b32 v4, v6 offset:2160
	ds_read_b64 v[5:6], v39
	ds_read_b64 v[11:12], v4 offset:1944
	s_waitcnt lgkmcnt(0)
	v_sub_f32_e32 v13, v5, v11
	v_add_f32_e32 v14, v6, v12
	v_sub_f32_e32 v6, v6, v12
	v_add_f32_e32 v5, v5, v11
	v_mul_f32_e32 v12, 0.5, v13
	v_mul_f32_e32 v13, 0.5, v14
	;; [unrolled: 1-line block ×3, first 2 shown]
	s_waitcnt vmcnt(3)
	v_mul_f32_e32 v11, v3, v12
	v_fma_f32 v14, v13, v3, v6
	v_fma_f32 v3, v13, v3, -v6
	v_fma_f32 v6, 0.5, v5, v11
	v_fma_f32 v5, v5, 0.5, -v11
	v_fma_f32 v11, -v2, v12, v14
	v_fma_f32 v3, -v2, v12, v3
	v_fmac_f32_e32 v6, v2, v13
	v_fma_f32 v2, -v2, v13, v5
	ds_write2_b32 v39, v6, v11 offset1:1
	ds_write_b64 v4, v[2:3] offset:1944
	ds_read_b64 v[2:3], v38
	ds_read_b64 v[5:6], v4 offset:1728
	s_waitcnt lgkmcnt(0)
	v_sub_f32_e32 v11, v2, v5
	v_add_f32_e32 v12, v3, v6
	v_sub_f32_e32 v3, v3, v6
	v_add_f32_e32 v2, v2, v5
	v_mul_f32_e32 v6, 0.5, v11
	v_mul_f32_e32 v11, 0.5, v12
	;; [unrolled: 1-line block ×3, first 2 shown]
	s_waitcnt vmcnt(2)
	v_mul_f32_e32 v5, v8, v6
	v_fma_f32 v12, v11, v8, v3
	v_fma_f32 v3, v11, v8, -v3
	v_fma_f32 v8, 0.5, v2, v5
	v_fma_f32 v2, v2, 0.5, -v5
	v_fma_f32 v5, -v7, v6, v12
	v_fma_f32 v3, -v7, v6, v3
	v_fmac_f32_e32 v8, v7, v11
	v_fma_f32 v2, -v7, v11, v2
	v_lshl_add_u32 v7, v28, 3, v36
	ds_write2_b32 v38, v8, v5 offset1:1
	ds_write_b64 v4, v[2:3] offset:1728
	ds_read_b64 v[2:3], v7
	ds_read_b64 v[5:6], v4 offset:1512
	s_waitcnt lgkmcnt(0)
	v_sub_f32_e32 v8, v2, v5
	v_add_f32_e32 v11, v3, v6
	v_sub_f32_e32 v3, v3, v6
	v_add_f32_e32 v2, v2, v5
	v_mul_f32_e32 v6, 0.5, v8
	v_mul_f32_e32 v8, 0.5, v11
	;; [unrolled: 1-line block ×3, first 2 shown]
	s_waitcnt vmcnt(1)
	v_mul_f32_e32 v5, v10, v6
	v_fma_f32 v11, v8, v10, v3
	v_fma_f32 v3, v8, v10, -v3
	v_fma_f32 v10, 0.5, v2, v5
	v_fma_f32 v2, v2, 0.5, -v5
	v_fma_f32 v5, -v9, v6, v11
	v_fma_f32 v3, -v9, v6, v3
	v_fmac_f32_e32 v10, v9, v8
	v_fma_f32 v2, -v9, v8, v2
	ds_write2_b32 v7, v10, v5 offset1:1
	ds_write_b64 v4, v[2:3] offset:1512
	ds_read_b64 v[2:3], v37 offset:864
	ds_read_b64 v[5:6], v4 offset:1296
	s_waitcnt lgkmcnt(0)
	v_sub_f32_e32 v7, v2, v5
	v_add_f32_e32 v8, v3, v6
	v_sub_f32_e32 v3, v3, v6
	v_add_f32_e32 v2, v2, v5
	v_mul_f32_e32 v6, 0.5, v7
	v_mul_f32_e32 v7, 0.5, v8
	;; [unrolled: 1-line block ×3, first 2 shown]
	s_waitcnt vmcnt(0)
	v_mul_f32_e32 v5, v1, v6
	v_fma_f32 v8, v7, v1, v3
	v_fma_f32 v1, v7, v1, -v3
	v_fma_f32 v3, 0.5, v2, v5
	v_fma_f32 v2, v2, 0.5, -v5
	v_fma_f32 v5, -v0, v6, v8
	v_fma_f32 v1, -v0, v6, v1
	v_fmac_f32_e32 v3, v0, v7
	v_fma_f32 v0, -v0, v7, v2
	ds_write2_b32 v37, v3, v5 offset0:216 offset1:217
	ds_write_b64 v4, v[0:1] offset:1296
	s_waitcnt lgkmcnt(0)
	s_barrier
	buffer_gl0_inv
	s_and_saveexec_b32 s0, vcc_lo
	s_cbranch_execz .LBB0_32
; %bb.30:
	v_mul_lo_u32 v0, s3, v22
	v_mul_lo_u32 v3, s2, v23
	v_mad_u64_u32 v[1:2], null, s2, v22, 0
	v_mov_b32_e32 v25, v27
	v_lshlrev_b64 v[11:12], 3, v[20:21]
	v_add_nc_u32_e32 v26, 27, v24
	v_lshlrev_b64 v[13:14], 3, v[24:25]
	v_add3_u32 v2, v2, v3, v0
	v_lshl_add_u32 v0, v24, 3, v36
	v_lshlrev_b64 v[15:16], 3, v[26:27]
	v_add_nc_u32_e32 v26, 54, v24
	v_lshlrev_b64 v[1:2], 3, v[1:2]
	ds_read2_b64 v[3:6], v0 offset1:27
	ds_read2_b64 v[7:10], v0 offset0:54 offset1:81
	v_add_co_u32 v1, vcc_lo, s10, v1
	v_add_co_ci_u32_e32 v2, vcc_lo, s11, v2, vcc_lo
	v_add_co_u32 v1, vcc_lo, v1, v11
	v_add_co_ci_u32_e32 v2, vcc_lo, v2, v12, vcc_lo
	v_lshlrev_b64 v[11:12], 3, v[26:27]
	v_add_co_u32 v13, vcc_lo, v1, v13
	v_add_co_ci_u32_e32 v14, vcc_lo, v2, v14, vcc_lo
	v_add_co_u32 v15, vcc_lo, v1, v15
	v_add_co_ci_u32_e32 v16, vcc_lo, v2, v16, vcc_lo
	v_add_nc_u32_e32 v26, 0x51, v24
	v_add_co_u32 v11, vcc_lo, v1, v11
	v_add_co_ci_u32_e32 v12, vcc_lo, v2, v12, vcc_lo
	v_lshlrev_b64 v[17:18], 3, v[26:27]
	v_add_nc_u32_e32 v26, 0x6c, v24
	s_waitcnt lgkmcnt(1)
	global_store_dwordx2 v[13:14], v[3:4], off
	global_store_dwordx2 v[15:16], v[5:6], off
	s_waitcnt lgkmcnt(0)
	global_store_dwordx2 v[11:12], v[7:8], off
	ds_read2_b64 v[3:6], v0 offset0:108 offset1:135
	v_lshlrev_b64 v[7:8], 3, v[26:27]
	v_add_nc_u32_e32 v26, 0x87, v24
	v_add_co_u32 v11, vcc_lo, v1, v17
	v_add_co_ci_u32_e32 v12, vcc_lo, v2, v18, vcc_lo
	v_lshlrev_b64 v[13:14], 3, v[26:27]
	v_add_nc_u32_e32 v26, 0xa2, v24
	v_add_co_u32 v7, vcc_lo, v1, v7
	v_add_co_ci_u32_e32 v8, vcc_lo, v2, v8, vcc_lo
	v_add_co_u32 v13, vcc_lo, v1, v13
	v_lshlrev_b64 v[15:16], 3, v[26:27]
	v_add_nc_u32_e32 v26, 0xbd, v24
	v_add_co_ci_u32_e32 v14, vcc_lo, v2, v14, vcc_lo
	global_store_dwordx2 v[11:12], v[9:10], off
	s_waitcnt lgkmcnt(0)
	global_store_dwordx2 v[7:8], v[3:4], off
	global_store_dwordx2 v[13:14], v[5:6], off
	v_lshlrev_b64 v[11:12], 3, v[26:27]
	v_add_nc_u32_e32 v26, 0xd8, v24
	v_add_co_u32 v13, vcc_lo, v1, v15
	ds_read2_b64 v[3:6], v0 offset0:162 offset1:189
	v_add_co_ci_u32_e32 v14, vcc_lo, v2, v16, vcc_lo
	v_lshlrev_b64 v[15:16], 3, v[26:27]
	v_add_nc_u32_e32 v26, 0xf3, v24
	ds_read2_b64 v[7:10], v0 offset0:216 offset1:243
	v_add_co_u32 v11, vcc_lo, v1, v11
	v_add_co_ci_u32_e32 v12, vcc_lo, v2, v12, vcc_lo
	v_lshlrev_b64 v[17:18], 3, v[26:27]
	v_add_co_u32 v15, vcc_lo, v1, v15
	v_add_co_ci_u32_e32 v16, vcc_lo, v2, v16, vcc_lo
	v_add_co_u32 v17, vcc_lo, v1, v17
	v_add_co_ci_u32_e32 v18, vcc_lo, v2, v18, vcc_lo
	v_cmp_eq_u32_e32 vcc_lo, 26, v24
	s_waitcnt lgkmcnt(1)
	global_store_dwordx2 v[13:14], v[3:4], off
	global_store_dwordx2 v[11:12], v[5:6], off
	s_waitcnt lgkmcnt(0)
	global_store_dwordx2 v[15:16], v[7:8], off
	global_store_dwordx2 v[17:18], v[9:10], off
	s_and_b32 exec_lo, exec_lo, vcc_lo
	s_cbranch_execz .LBB0_32
; %bb.31:
	ds_read_b64 v[3:4], v0 offset:1952
	v_add_co_u32 v0, vcc_lo, 0x800, v1
	v_add_co_ci_u32_e32 v1, vcc_lo, 0, v2, vcc_lo
	s_waitcnt lgkmcnt(0)
	global_store_dwordx2 v[0:1], v[3:4], off offset:112
.LBB0_32:
	s_endpgm
	.section	.rodata,"a",@progbits
	.p2align	6, 0x0
	.amdhsa_kernel fft_rtc_back_len270_factors_10_3_3_3_wgs_108_tpt_27_halfLds_sp_op_CI_CI_unitstride_sbrr_R2C_dirReg
		.amdhsa_group_segment_fixed_size 0
		.amdhsa_private_segment_fixed_size 0
		.amdhsa_kernarg_size 104
		.amdhsa_user_sgpr_count 6
		.amdhsa_user_sgpr_private_segment_buffer 1
		.amdhsa_user_sgpr_dispatch_ptr 0
		.amdhsa_user_sgpr_queue_ptr 0
		.amdhsa_user_sgpr_kernarg_segment_ptr 1
		.amdhsa_user_sgpr_dispatch_id 0
		.amdhsa_user_sgpr_flat_scratch_init 0
		.amdhsa_user_sgpr_private_segment_size 0
		.amdhsa_wavefront_size32 1
		.amdhsa_uses_dynamic_stack 0
		.amdhsa_system_sgpr_private_segment_wavefront_offset 0
		.amdhsa_system_sgpr_workgroup_id_x 1
		.amdhsa_system_sgpr_workgroup_id_y 0
		.amdhsa_system_sgpr_workgroup_id_z 0
		.amdhsa_system_sgpr_workgroup_info 0
		.amdhsa_system_vgpr_workitem_id 0
		.amdhsa_next_free_vgpr 66
		.amdhsa_next_free_sgpr 27
		.amdhsa_reserve_vcc 1
		.amdhsa_reserve_flat_scratch 0
		.amdhsa_float_round_mode_32 0
		.amdhsa_float_round_mode_16_64 0
		.amdhsa_float_denorm_mode_32 3
		.amdhsa_float_denorm_mode_16_64 3
		.amdhsa_dx10_clamp 1
		.amdhsa_ieee_mode 1
		.amdhsa_fp16_overflow 0
		.amdhsa_workgroup_processor_mode 1
		.amdhsa_memory_ordered 1
		.amdhsa_forward_progress 0
		.amdhsa_shared_vgpr_count 0
		.amdhsa_exception_fp_ieee_invalid_op 0
		.amdhsa_exception_fp_denorm_src 0
		.amdhsa_exception_fp_ieee_div_zero 0
		.amdhsa_exception_fp_ieee_overflow 0
		.amdhsa_exception_fp_ieee_underflow 0
		.amdhsa_exception_fp_ieee_inexact 0
		.amdhsa_exception_int_div_zero 0
	.end_amdhsa_kernel
	.text
.Lfunc_end0:
	.size	fft_rtc_back_len270_factors_10_3_3_3_wgs_108_tpt_27_halfLds_sp_op_CI_CI_unitstride_sbrr_R2C_dirReg, .Lfunc_end0-fft_rtc_back_len270_factors_10_3_3_3_wgs_108_tpt_27_halfLds_sp_op_CI_CI_unitstride_sbrr_R2C_dirReg
                                        ; -- End function
	.section	.AMDGPU.csdata,"",@progbits
; Kernel info:
; codeLenInByte = 6968
; NumSgprs: 29
; NumVgprs: 66
; ScratchSize: 0
; MemoryBound: 0
; FloatMode: 240
; IeeeMode: 1
; LDSByteSize: 0 bytes/workgroup (compile time only)
; SGPRBlocks: 3
; VGPRBlocks: 8
; NumSGPRsForWavesPerEU: 29
; NumVGPRsForWavesPerEU: 66
; Occupancy: 12
; WaveLimiterHint : 1
; COMPUTE_PGM_RSRC2:SCRATCH_EN: 0
; COMPUTE_PGM_RSRC2:USER_SGPR: 6
; COMPUTE_PGM_RSRC2:TRAP_HANDLER: 0
; COMPUTE_PGM_RSRC2:TGID_X_EN: 1
; COMPUTE_PGM_RSRC2:TGID_Y_EN: 0
; COMPUTE_PGM_RSRC2:TGID_Z_EN: 0
; COMPUTE_PGM_RSRC2:TIDIG_COMP_CNT: 0
	.text
	.p2alignl 6, 3214868480
	.fill 48, 4, 3214868480
	.type	__hip_cuid_1e23d712d498684,@object ; @__hip_cuid_1e23d712d498684
	.section	.bss,"aw",@nobits
	.globl	__hip_cuid_1e23d712d498684
__hip_cuid_1e23d712d498684:
	.byte	0                               ; 0x0
	.size	__hip_cuid_1e23d712d498684, 1

	.ident	"AMD clang version 19.0.0git (https://github.com/RadeonOpenCompute/llvm-project roc-6.4.0 25133 c7fe45cf4b819c5991fe208aaa96edf142730f1d)"
	.section	".note.GNU-stack","",@progbits
	.addrsig
	.addrsig_sym __hip_cuid_1e23d712d498684
	.amdgpu_metadata
---
amdhsa.kernels:
  - .args:
      - .actual_access:  read_only
        .address_space:  global
        .offset:         0
        .size:           8
        .value_kind:     global_buffer
      - .offset:         8
        .size:           8
        .value_kind:     by_value
      - .actual_access:  read_only
        .address_space:  global
        .offset:         16
        .size:           8
        .value_kind:     global_buffer
      - .actual_access:  read_only
        .address_space:  global
        .offset:         24
        .size:           8
        .value_kind:     global_buffer
      - .actual_access:  read_only
        .address_space:  global
        .offset:         32
        .size:           8
        .value_kind:     global_buffer
      - .offset:         40
        .size:           8
        .value_kind:     by_value
      - .actual_access:  read_only
        .address_space:  global
        .offset:         48
        .size:           8
        .value_kind:     global_buffer
      - .actual_access:  read_only
        .address_space:  global
        .offset:         56
        .size:           8
        .value_kind:     global_buffer
      - .offset:         64
        .size:           4
        .value_kind:     by_value
      - .actual_access:  read_only
        .address_space:  global
        .offset:         72
        .size:           8
        .value_kind:     global_buffer
      - .actual_access:  read_only
        .address_space:  global
        .offset:         80
        .size:           8
        .value_kind:     global_buffer
      - .actual_access:  read_only
        .address_space:  global
        .offset:         88
        .size:           8
        .value_kind:     global_buffer
      - .actual_access:  write_only
        .address_space:  global
        .offset:         96
        .size:           8
        .value_kind:     global_buffer
    .group_segment_fixed_size: 0
    .kernarg_segment_align: 8
    .kernarg_segment_size: 104
    .language:       OpenCL C
    .language_version:
      - 2
      - 0
    .max_flat_workgroup_size: 108
    .name:           fft_rtc_back_len270_factors_10_3_3_3_wgs_108_tpt_27_halfLds_sp_op_CI_CI_unitstride_sbrr_R2C_dirReg
    .private_segment_fixed_size: 0
    .sgpr_count:     29
    .sgpr_spill_count: 0
    .symbol:         fft_rtc_back_len270_factors_10_3_3_3_wgs_108_tpt_27_halfLds_sp_op_CI_CI_unitstride_sbrr_R2C_dirReg.kd
    .uniform_work_group_size: 1
    .uses_dynamic_stack: false
    .vgpr_count:     66
    .vgpr_spill_count: 0
    .wavefront_size: 32
    .workgroup_processor_mode: 1
amdhsa.target:   amdgcn-amd-amdhsa--gfx1030
amdhsa.version:
  - 1
  - 2
...

	.end_amdgpu_metadata
